;; amdgpu-corpus repo=ROCm/bitsandbytes kind=harvested arch=n/a opt=n/a
	.text
	.amdgcn_target "amdgcn-amd-amdhsa--gfx942"
	.amdhsa_code_object_version 6
	.protected	_Z22kdequant_mm_int32_fp16ILi4ELi512EEvPiPfS1_P6__halfS3_iii ; -- Begin function _Z22kdequant_mm_int32_fp16ILi4ELi512EEvPiPfS1_P6__halfS3_iii
	.globl	_Z22kdequant_mm_int32_fp16ILi4ELi512EEvPiPfS1_P6__halfS3_iii
	.p2align	8
	.type	_Z22kdequant_mm_int32_fp16ILi4ELi512EEvPiPfS1_P6__halfS3_iii,@function
_Z22kdequant_mm_int32_fp16ILi4ELi512EEvPiPfS1_P6__halfS3_iii: ; @_Z22kdequant_mm_int32_fp16ILi4ELi512EEvPiPfS1_P6__halfS3_iii
; %bb.0:
	s_load_dwordx2 s[12:13], s[0:1], 0x28
	s_load_dwordx4 s[8:11], s[0:1], 0x8
	s_lshl_b32 s6, s2, 11
	v_lshlrev_b32_e32 v13, 2, v0
	v_add_u32_e32 v8, s6, v13
	s_waitcnt lgkmcnt(0)
	s_cmp_lt_i32 s13, 0
	s_cselect_b64 s[2:3], -1, 0
	s_cmp_gt_i32 s13, -1
	s_cselect_b64 s[4:5], -1, 0
	s_abs_i32 s7, s13
	v_cvt_f32_u32_e32 v1, s7
	v_ashrrev_i32_e32 v9, 31, v8
	s_ashr_i32 s14, s13, 31
	v_xor_b32_e32 v4, s14, v9
	v_rcp_iflag_f32_e32 v0, v1
	s_sub_i32 s14, 0, s7
	v_sub_u32_e32 v1, 0, v8
	v_max_i32_e32 v1, v8, v1
	v_mul_f32_e32 v0, 0x4f7ffffe, v0
	v_cvt_u32_f32_e32 v0, v0
	v_mov_b32_e32 v12, 0
	v_mov_b32_e32 v14, 0
	v_mul_lo_u32 v2, s14, v0
	v_mul_hi_u32 v2, v0, v2
	v_add_u32_e32 v5, v0, v2
	v_mul_hi_u32 v0, v1, v5
	v_mul_lo_u32 v2, v0, s7
	v_sub_u32_e32 v1, v1, v2
	v_add_u32_e32 v2, 1, v0
	v_cmp_le_u32_e32 vcc, s7, v1
	s_nop 1
	v_cndmask_b32_e32 v0, v0, v2, vcc
	v_subrev_u32_e32 v2, s7, v1
	v_cndmask_b32_e32 v1, v1, v2, vcc
	v_add_u32_e32 v2, 1, v0
	v_cmp_le_u32_e32 vcc, s7, v1
	s_nop 1
	v_cndmask_b32_e32 v0, v0, v2, vcc
	v_xor_b32_e32 v0, v0, v4
	v_sub_u32_e32 v2, v0, v4
	v_mul_lo_u32 v0, v2, s13
	v_sub_u32_e32 v0, v8, v0
	s_and_b64 vcc, exec, s[4:5]
	v_ashrrev_i32_e32 v1, 31, v0
	s_cbranch_vccz .LBB37_2
; %bb.1:
	v_lshl_add_u64 v[6:7], v[0:1], 2, s[10:11]
	global_load_dword v14, v[6:7], off
.LBB37_2:
	s_load_dwordx2 s[14:15], s[0:1], 0x20
	v_cmp_gt_i32_e32 vcc, s12, v2
	s_and_saveexec_b64 s[16:17], vcc
	s_cbranch_execz .LBB37_4
; %bb.3:
	v_ashrrev_i32_e32 v3, 31, v2
	v_lshl_add_u64 v[2:3], v[2:3], 2, s[8:9]
	global_load_dword v12, v[2:3], off
.LBB37_4:
	s_or_b64 exec, exec, s[16:17]
	s_waitcnt lgkmcnt(0)
	s_cmp_eq_u64 s[14:15], 0
	s_cselect_b64 s[16:17], -1, 0
	s_or_b64 s[16:17], s[16:17], s[2:3]
	s_and_b64 vcc, exec, s[16:17]
	v_mov_b32_e32 v15, 0
	v_mov_b32_e32 v16, 0
	s_cbranch_vccnz .LBB37_6
; %bb.5:
	v_lshl_add_u64 v[0:1], v[0:1], 1, s[14:15]
	global_load_ushort v0, v[0:1], off
	s_waitcnt vmcnt(0)
	v_cvt_f32_f16_e32 v16, v0
.LBB37_6:
	v_or_b32_e32 v17, 1, v8
	v_add_u32_e32 v0, v17, v9
	v_xor_b32_e32 v0, v0, v9
	v_mul_hi_u32 v1, v0, v5
	v_mul_lo_u32 v2, v1, s7
	v_sub_u32_e32 v0, v0, v2
	v_add_u32_e32 v2, 1, v1
	v_cmp_le_u32_e32 vcc, s7, v0
	s_nop 1
	v_cndmask_b32_e32 v1, v1, v2, vcc
	v_subrev_u32_e32 v2, s7, v0
	v_cndmask_b32_e32 v0, v0, v2, vcc
	v_add_u32_e32 v2, 1, v1
	v_cmp_le_u32_e32 vcc, s7, v0
	s_nop 1
	v_cndmask_b32_e32 v0, v1, v2, vcc
	v_xor_b32_e32 v0, v0, v4
	v_sub_u32_e32 v2, v0, v4
	v_mul_lo_u32 v0, v2, s13
	v_sub_u32_e32 v0, v17, v0
	v_cndmask_b32_e64 v1, 0, 1, s[4:5]
	v_cmp_ne_u32_e64 s[2:3], 1, v1
	s_andn2_b64 vcc, exec, s[4:5]
	v_ashrrev_i32_e32 v1, 31, v0
	s_cbranch_vccnz .LBB37_8
; %bb.7:
	v_lshl_add_u64 v[6:7], v[0:1], 2, s[10:11]
	global_load_dword v15, v[6:7], off
.LBB37_8:
	s_xor_b64 s[16:17], s[16:17], -1
	v_cmp_gt_i32_e32 vcc, s12, v2
	v_mov_b32_e32 v18, 0
	v_mov_b32_e32 v19, 0
	s_and_saveexec_b64 s[4:5], vcc
	s_cbranch_execz .LBB37_10
; %bb.9:
	v_ashrrev_i32_e32 v3, 31, v2
	v_lshl_add_u64 v[2:3], v[2:3], 2, s[8:9]
	global_load_dword v19, v[2:3], off
.LBB37_10:
	s_or_b64 exec, exec, s[4:5]
	v_cndmask_b32_e64 v2, 0, 1, s[16:17]
	v_cmp_ne_u32_e64 s[4:5], 1, v2
	s_andn2_b64 vcc, exec, s[16:17]
	s_cbranch_vccnz .LBB37_12
; %bb.11:
	v_lshl_add_u64 v[0:1], v[0:1], 1, s[14:15]
	global_load_ushort v0, v[0:1], off
	s_waitcnt vmcnt(0)
	v_cvt_f32_f16_e32 v18, v0
.LBB37_12:
	v_or_b32_e32 v20, 2, v8
	v_add_u32_e32 v0, v20, v9
	v_xor_b32_e32 v0, v0, v9
	v_mul_hi_u32 v1, v0, v5
	v_mul_lo_u32 v2, v1, s7
	v_sub_u32_e32 v0, v0, v2
	v_add_u32_e32 v2, 1, v1
	v_cmp_le_u32_e32 vcc, s7, v0
	v_mov_b32_e32 v22, 0
	v_mov_b32_e32 v21, 0
	v_cndmask_b32_e32 v1, v1, v2, vcc
	v_subrev_u32_e32 v2, s7, v0
	v_cndmask_b32_e32 v0, v0, v2, vcc
	v_add_u32_e32 v2, 1, v1
	v_cmp_le_u32_e32 vcc, s7, v0
	s_nop 1
	v_cndmask_b32_e32 v0, v1, v2, vcc
	v_xor_b32_e32 v0, v0, v4
	v_sub_u32_e32 v2, v0, v4
	v_mul_lo_u32 v0, v2, s13
	v_sub_u32_e32 v0, v20, v0
	s_and_b64 vcc, exec, s[2:3]
	v_ashrrev_i32_e32 v1, 31, v0
	s_cbranch_vccnz .LBB37_14
; %bb.13:
	v_lshl_add_u64 v[6:7], v[0:1], 2, s[10:11]
	global_load_dword v21, v[6:7], off
.LBB37_14:
	v_cmp_gt_i32_e32 vcc, s12, v2
	s_and_saveexec_b64 s[16:17], vcc
	s_cbranch_execz .LBB37_16
; %bb.15:
	v_ashrrev_i32_e32 v3, 31, v2
	v_lshl_add_u64 v[2:3], v[2:3], 2, s[8:9]
	global_load_dword v22, v[2:3], off
.LBB37_16:
	s_or_b64 exec, exec, s[16:17]
	s_and_b64 vcc, exec, s[4:5]
	v_mov_b32_e32 v23, 0
	v_mov_b32_e32 v25, 0
	s_cbranch_vccnz .LBB37_18
; %bb.17:
	v_lshl_add_u64 v[0:1], v[0:1], 1, s[14:15]
	global_load_ushort v0, v[0:1], off
	s_waitcnt vmcnt(0)
	v_cvt_f32_f16_e32 v25, v0
.LBB37_18:
	v_or_b32_e32 v24, 3, v8
	v_add_u32_e32 v0, v24, v9
	v_xor_b32_e32 v0, v0, v9
	v_mul_hi_u32 v1, v0, v5
	v_mul_lo_u32 v2, v1, s7
	v_sub_u32_e32 v0, v0, v2
	v_add_u32_e32 v2, 1, v1
	v_cmp_le_u32_e32 vcc, s7, v0
	s_nop 1
	v_cndmask_b32_e32 v1, v1, v2, vcc
	v_subrev_u32_e32 v2, s7, v0
	v_cndmask_b32_e32 v0, v0, v2, vcc
	v_add_u32_e32 v2, 1, v1
	v_cmp_le_u32_e32 vcc, s7, v0
	s_nop 1
	v_cndmask_b32_e32 v0, v1, v2, vcc
	v_xor_b32_e32 v0, v0, v4
	v_sub_u32_e32 v2, v0, v4
	v_mul_lo_u32 v0, v2, s13
	v_sub_u32_e32 v0, v24, v0
	s_and_b64 vcc, exec, s[2:3]
	v_ashrrev_i32_e32 v1, 31, v0
	s_cbranch_vccnz .LBB37_20
; %bb.19:
	v_lshl_add_u64 v[4:5], v[0:1], 2, s[10:11]
	global_load_dword v23, v[4:5], off
.LBB37_20:
	s_load_dwordx2 s[2:3], s[0:1], 0x0
	v_cmp_gt_i32_e32 vcc, s12, v2
	v_mov_b32_e32 v26, 0
	v_mov_b32_e32 v27, 0
	s_and_saveexec_b64 s[10:11], vcc
	s_cbranch_execz .LBB37_22
; %bb.21:
	v_ashrrev_i32_e32 v3, 31, v2
	v_lshl_add_u64 v[2:3], v[2:3], 2, s[8:9]
	global_load_dword v27, v[2:3], off
.LBB37_22:
	s_or_b64 exec, exec, s[10:11]
	s_and_b64 vcc, exec, s[4:5]
	s_cbranch_vccnz .LBB37_24
; %bb.23:
	v_lshl_add_u64 v[0:1], v[0:1], 1, s[14:15]
	global_load_ushort v0, v[0:1], off
	s_waitcnt vmcnt(0)
	v_cvt_f32_f16_e32 v26, v0
.LBB37_24:
	s_mul_i32 s4, s13, s12
	s_add_i32 s5, s6, 0x800
	s_sub_i32 s7, s4, s6
	s_cmp_ge_i32 s5, s4
	s_cselect_b32 s5, s7, 0x800
	s_ashr_i32 s7, s6, 31
	s_lshl_b64 s[6:7], s[6:7], 2
	s_mov_b32 s8, 0
	s_waitcnt lgkmcnt(0)
	s_add_u32 s2, s2, s6
	s_mov_b32 s9, s8
	s_addc_u32 s3, s3, s7
	v_lshlrev_b32_e32 v4, 2, v13
	v_mov_b32_e32 v5, 0
	s_mov_b32 s10, s8
	s_mov_b32 s11, s8
	v_mov_b64_e32 v[0:1], s[8:9]
	v_lshl_add_u64 v[10:11], s[2:3], 0, v[4:5]
	v_cmp_gt_u32_e32 vcc, s5, v13
	v_mov_b64_e32 v[2:3], s[10:11]
	s_and_saveexec_b64 s[2:3], vcc
	s_xor_b64 s[2:3], exec, s[2:3]
	s_cbranch_execz .LBB37_26
; %bb.25:
	global_load_dword v4, v[10:11], off
	v_mov_b32_e32 v6, v5
	v_mov_b32_e32 v7, v5
	s_waitcnt vmcnt(0)
	v_mov_b64_e32 v[0:1], v[4:5]
	v_mov_b64_e32 v[2:3], v[6:7]
.LBB37_26:
	s_or_b64 exec, exec, s[2:3]
	v_or_b32_e32 v4, 1, v13
	v_cmp_gt_u32_e32 vcc, s5, v4
	s_and_saveexec_b64 s[2:3], vcc
	s_cbranch_execz .LBB37_28
; %bb.27:
	global_load_dword v1, v[10:11], off offset:4
.LBB37_28:
	s_or_b64 exec, exec, s[2:3]
	v_or_b32_e32 v4, 2, v13
	v_cmp_gt_u32_e32 vcc, s5, v4
	s_and_saveexec_b64 s[2:3], vcc
	s_cbranch_execz .LBB37_30
; %bb.29:
	global_load_dword v2, v[10:11], off offset:8
.LBB37_30:
	;; [unrolled: 8-line block ×3, first 2 shown]
	s_or_b64 exec, exec, s[2:3]
	s_load_dwordx2 s[0:1], s[0:1], 0x18
	v_cmp_gt_i32_e32 vcc, s4, v8
	s_and_saveexec_b64 s[2:3], vcc
	s_cbranch_execnz .LBB37_37
; %bb.33:
	s_or_b64 exec, exec, s[2:3]
	v_cmp_gt_i32_e32 vcc, s4, v17
	s_and_saveexec_b64 s[2:3], vcc
	s_cbranch_execnz .LBB37_38
.LBB37_34:
	s_or_b64 exec, exec, s[2:3]
	v_cmp_gt_i32_e32 vcc, s4, v20
	s_and_saveexec_b64 s[2:3], vcc
	s_cbranch_execnz .LBB37_39
.LBB37_35:
	s_or_b64 exec, exec, s[2:3]
	v_cmp_gt_i32_e32 vcc, s4, v24
	s_and_saveexec_b64 s[2:3], vcc
	s_cbranch_execnz .LBB37_40
.LBB37_36:
	s_endpgm
.LBB37_37:
	v_cvt_f32_i32_e32 v0, v0
	s_mov_b32 s5, 0x38820610
	s_waitcnt lgkmcnt(0)
	v_lshl_add_u64 v[4:5], v[8:9], 1, s[0:1]
	s_waitcnt vmcnt(0)
	v_mul_f32_e32 v0, v12, v0
	v_mul_f32_e32 v0, v14, v0
	v_fma_mixlo_f16 v0, v0, s5, v16
	global_store_short v[4:5], v0, off
	s_or_b64 exec, exec, s[2:3]
	v_cmp_gt_i32_e32 vcc, s4, v17
	s_and_saveexec_b64 s[2:3], vcc
	s_cbranch_execz .LBB37_34
.LBB37_38:
	s_waitcnt vmcnt(0)
	v_cvt_f32_i32_e32 v0, v1
	s_mov_b32 s5, 0x38820610
	v_mul_f32_e32 v0, v19, v0
	v_mul_f32_e32 v0, v15, v0
	v_fma_mixlo_f16 v4, v0, s5, v18
	s_waitcnt lgkmcnt(0)
	v_lshl_add_u64 v[0:1], v[8:9], 1, s[0:1]
	global_store_short v[0:1], v4, off offset:2
	s_or_b64 exec, exec, s[2:3]
	v_cmp_gt_i32_e32 vcc, s4, v20
	s_and_saveexec_b64 s[2:3], vcc
	s_cbranch_execz .LBB37_35
.LBB37_39:
	s_waitcnt vmcnt(0)
	v_cvt_f32_i32_e32 v0, v2
	s_mov_b32 s5, 0x38820610
	v_mul_f32_e32 v0, v22, v0
	v_mul_f32_e32 v0, v21, v0
	v_fma_mixlo_f16 v2, v0, s5, v25
	s_waitcnt lgkmcnt(0)
	v_lshl_add_u64 v[0:1], v[8:9], 1, s[0:1]
	global_store_short v[0:1], v2, off offset:4
	s_or_b64 exec, exec, s[2:3]
	v_cmp_gt_i32_e32 vcc, s4, v24
	s_and_saveexec_b64 s[2:3], vcc
	s_cbranch_execz .LBB37_36
.LBB37_40:
	s_waitcnt vmcnt(0)
	v_cvt_f32_i32_e32 v0, v3
	s_mov_b32 s2, 0x38820610
	v_mul_f32_e32 v0, v27, v0
	v_mul_f32_e32 v0, v23, v0
	v_fma_mixlo_f16 v2, v0, s2, v26
	s_waitcnt lgkmcnt(0)
	v_lshl_add_u64 v[0:1], v[8:9], 1, s[0:1]
	global_store_short v[0:1], v2, off offset:6
	s_endpgm
	.section	.rodata,"a",@progbits
	.p2align	6, 0x0
	.amdhsa_kernel _Z22kdequant_mm_int32_fp16ILi4ELi512EEvPiPfS1_P6__halfS3_iii
		.amdhsa_group_segment_fixed_size 0
		.amdhsa_private_segment_fixed_size 0
		.amdhsa_kernarg_size 52
		.amdhsa_user_sgpr_count 2
		.amdhsa_user_sgpr_dispatch_ptr 0
		.amdhsa_user_sgpr_queue_ptr 0
		.amdhsa_user_sgpr_kernarg_segment_ptr 1
		.amdhsa_user_sgpr_dispatch_id 0
		.amdhsa_user_sgpr_kernarg_preload_length 0
		.amdhsa_user_sgpr_kernarg_preload_offset 0
		.amdhsa_user_sgpr_private_segment_size 0
		.amdhsa_uses_dynamic_stack 0
		.amdhsa_enable_private_segment 0
		.amdhsa_system_sgpr_workgroup_id_x 1
		.amdhsa_system_sgpr_workgroup_id_y 0
		.amdhsa_system_sgpr_workgroup_id_z 0
		.amdhsa_system_sgpr_workgroup_info 0
		.amdhsa_system_vgpr_workitem_id 0
		.amdhsa_next_free_vgpr 28
		.amdhsa_next_free_sgpr 18
		.amdhsa_accum_offset 28
		.amdhsa_reserve_vcc 1
		.amdhsa_float_round_mode_32 0
		.amdhsa_float_round_mode_16_64 0
		.amdhsa_float_denorm_mode_32 3
		.amdhsa_float_denorm_mode_16_64 3
		.amdhsa_dx10_clamp 1
		.amdhsa_ieee_mode 1
		.amdhsa_fp16_overflow 0
		.amdhsa_tg_split 0
		.amdhsa_exception_fp_ieee_invalid_op 0
		.amdhsa_exception_fp_denorm_src 0
		.amdhsa_exception_fp_ieee_div_zero 0
		.amdhsa_exception_fp_ieee_overflow 0
		.amdhsa_exception_fp_ieee_underflow 0
		.amdhsa_exception_fp_ieee_inexact 0
		.amdhsa_exception_int_div_zero 0
	.end_amdhsa_kernel
	.section	.text._Z22kdequant_mm_int32_fp16ILi4ELi512EEvPiPfS1_P6__halfS3_iii,"axG",@progbits,_Z22kdequant_mm_int32_fp16ILi4ELi512EEvPiPfS1_P6__halfS3_iii,comdat
.Lfunc_end37:
	.size	_Z22kdequant_mm_int32_fp16ILi4ELi512EEvPiPfS1_P6__halfS3_iii, .Lfunc_end37-_Z22kdequant_mm_int32_fp16ILi4ELi512EEvPiPfS1_P6__halfS3_iii
                                        ; -- End function
	.section	.AMDGPU.csdata,"",@progbits
; Kernel info:
; codeLenInByte = 1520
; NumSgprs: 24
; NumVgprs: 28
; NumAgprs: 0
; TotalNumVgprs: 28
; ScratchSize: 0
; MemoryBound: 0
; FloatMode: 240
; IeeeMode: 1
; LDSByteSize: 0 bytes/workgroup (compile time only)
; SGPRBlocks: 2
; VGPRBlocks: 3
; NumSGPRsForWavesPerEU: 24
; NumVGPRsForWavesPerEU: 28
; AccumOffset: 28
; Occupancy: 8
; WaveLimiterHint : 0
; COMPUTE_PGM_RSRC2:SCRATCH_EN: 0
; COMPUTE_PGM_RSRC2:USER_SGPR: 2
; COMPUTE_PGM_RSRC2:TRAP_HANDLER: 0
; COMPUTE_PGM_RSRC2:TGID_X_EN: 1
; COMPUTE_PGM_RSRC2:TGID_Y_EN: 0
; COMPUTE_PGM_RSRC2:TGID_Z_EN: 0
; COMPUTE_PGM_RSRC2:TIDIG_COMP_CNT: 0
; COMPUTE_PGM_RSRC3_GFX90A:ACCUM_OFFSET: 6
; COMPUTE_PGM_RSRC3_GFX90A:TG_SPLIT: 0
	.section	.text._Z33kPreconditionOptimizer32bit1StateI6__halfLi1ELi4096ELi8EEvPT_S2_PfS3_ffffiffi,"axG",@progbits,_Z33kPreconditionOptimizer32bit1StateI6__halfLi1ELi4096ELi8EEvPT_S2_PfS3_ffffiffi,comdat
